;; amdgpu-corpus repo=ROCm/rocFFT kind=compiled arch=gfx1201 opt=O3
	.text
	.amdgcn_target "amdgcn-amd-amdhsa--gfx1201"
	.amdhsa_code_object_version 6
	.protected	fft_rtc_back_len224_factors_8_7_4_wgs_504_tpt_56_half_ip_CI_sbcc_twdbase5_3step_dirReg ; -- Begin function fft_rtc_back_len224_factors_8_7_4_wgs_504_tpt_56_half_ip_CI_sbcc_twdbase5_3step_dirReg
	.globl	fft_rtc_back_len224_factors_8_7_4_wgs_504_tpt_56_half_ip_CI_sbcc_twdbase5_3step_dirReg
	.p2align	8
	.type	fft_rtc_back_len224_factors_8_7_4_wgs_504_tpt_56_half_ip_CI_sbcc_twdbase5_3step_dirReg,@function
fft_rtc_back_len224_factors_8_7_4_wgs_504_tpt_56_half_ip_CI_sbcc_twdbase5_3step_dirReg: ; @fft_rtc_back_len224_factors_8_7_4_wgs_504_tpt_56_half_ip_CI_sbcc_twdbase5_3step_dirReg
; %bb.0:
	s_load_b256 s[4:11], s[0:1], 0x8
	s_mov_b32 s20, ttmp9
	s_mov_b32 s2, exec_lo
	v_cmpx_gt_u32_e32 0x60, v0
	s_cbranch_execz .LBB0_2
; %bb.1:
	v_lshlrev_b32_e32 v1, 2, v0
	s_wait_kmcnt 0x0
	global_load_b32 v2, v1, s[4:5]
	v_add_nc_u32_e32 v1, 0, v1
	s_wait_loadcnt 0x0
	ds_store_b32 v1, v2 offset:8064
.LBB0_2:
	s_or_b32 exec_lo, exec_lo, s2
	s_mov_b32 s21, 0
	s_mov_b32 s2, 0x71c4fc00
	s_movk_i32 s3, 0x7c
	s_wait_kmcnt 0x0
	s_mov_b32 s4, s21
	s_mov_b32 s5, s21
	s_load_b64 s[16:17], s[8:9], 0x8
	s_add_nc_u64 s[2:3], s[4:5], s[2:3]
	s_mov_b32 s15, s21
	s_add_co_i32 s3, s3, 0x1c71c6a0
	s_mov_b64 s[24:25], 0
	s_mul_u64 s[4:5], s[2:3], -9
	s_delay_alu instid0(SALU_CYCLE_1)
	s_mul_hi_u32 s13, s2, s5
	s_mul_i32 s12, s2, s5
	s_mul_hi_u32 s14, s2, s4
	s_mul_hi_u32 s18, s3, s4
	s_mul_i32 s4, s3, s4
	s_add_nc_u64 s[12:13], s[14:15], s[12:13]
	s_mul_hi_u32 s14, s3, s5
	s_add_co_u32 s4, s12, s4
	s_add_co_ci_u32 s4, s13, s18
	s_add_co_ci_u32 s13, s14, 0
	s_mul_i32 s12, s3, s5
	s_mov_b32 s5, s21
	s_delay_alu instid0(SALU_CYCLE_1) | instskip(SKIP_3) | instid1(VALU_DEP_1)
	s_add_nc_u64 s[4:5], s[4:5], s[12:13]
	s_wait_kmcnt 0x0
	s_add_nc_u64 s[12:13], s[16:17], -1
	v_add_co_u32 v1, s2, s2, s4
	s_cmp_lg_u32 s2, 0
	s_add_co_ci_u32 s15, s3, s5
	s_delay_alu instid0(VALU_DEP_1) | instskip(SKIP_3) | instid1(VALU_DEP_1)
	v_readfirstlane_b32 s14, v1
	s_mul_hi_u32 s3, s12, s15
	s_mul_i32 s2, s12, s15
	s_mov_b32 s5, s21
	s_mul_hi_u32 s4, s12, s14
	s_wait_alu 0xfffe
	s_add_nc_u64 s[2:3], s[4:5], s[2:3]
	s_mul_i32 s5, s13, s14
	s_mul_hi_u32 s14, s13, s14
	s_mul_hi_u32 s4, s13, s15
	s_wait_alu 0xfffe
	s_add_co_u32 s2, s2, s5
	s_add_co_ci_u32 s2, s3, s14
	s_add_co_ci_u32 s5, s4, 0
	s_mul_i32 s4, s13, s15
	s_mov_b32 s3, s21
	s_wait_alu 0xfffe
	s_add_nc_u64 s[2:3], s[2:3], s[4:5]
	s_wait_alu 0xfffe
	s_mul_u64 s[4:5], s[2:3], 9
	s_wait_alu 0xfffe
	v_sub_co_u32 v1, s4, s12, s4
	s_delay_alu instid0(VALU_DEP_1) | instskip(SKIP_1) | instid1(VALU_DEP_1)
	s_cmp_lg_u32 s4, 0
	s_sub_co_ci_u32 s14, s13, s5
	v_sub_co_u32 v2, s12, v1, 9
	s_delay_alu instid0(VALU_DEP_1) | instskip(SKIP_2) | instid1(VALU_DEP_2)
	s_cmp_lg_u32 s12, 0
	v_readfirstlane_b32 s18, v1
	s_sub_co_ci_u32 s12, s14, 0
	v_readfirstlane_b32 s4, v2
	s_delay_alu instid0(VALU_DEP_1)
	s_cmp_gt_u32 s4, 8
	s_add_nc_u64 s[4:5], s[2:3], 1
	s_cselect_b32 s15, -1, 0
	s_wait_alu 0xfffe
	s_cmp_eq_u32 s12, 0
	s_add_nc_u64 s[12:13], s[2:3], 2
	s_cselect_b32 s15, s15, -1
	s_delay_alu instid0(SALU_CYCLE_1)
	s_cmp_lg_u32 s15, 0
	s_wait_alu 0xfffe
	s_cselect_b32 s4, s12, s4
	s_cselect_b32 s5, s13, s5
	s_cmp_gt_u32 s18, 8
	s_cselect_b32 s12, -1, 0
	s_cmp_eq_u32 s14, 0
	s_wait_alu 0xfffe
	s_cselect_b32 s12, s12, -1
	s_wait_alu 0xfffe
	s_cmp_lg_u32 s12, 0
	s_cselect_b32 s3, s5, s3
	s_cselect_b32 s2, s4, s2
	s_wait_alu 0xfffe
	s_add_nc_u64 s[4:5], s[2:3], 1
	s_wait_alu 0xfffe
	v_cmp_lt_u64_e64 s2, s[20:21], s[4:5]
	s_delay_alu instid0(VALU_DEP_1)
	s_and_b32 vcc_lo, exec_lo, s2
	s_cbranch_vccnz .LBB0_4
; %bb.3:
	v_cvt_f32_u32_e32 v1, s4
	s_sub_co_i32 s3, 0, s4
	s_mov_b32 s25, s21
	s_delay_alu instid0(VALU_DEP_1) | instskip(NEXT) | instid1(TRANS32_DEP_1)
	v_rcp_iflag_f32_e32 v1, v1
	v_mul_f32_e32 v1, 0x4f7ffffe, v1
	s_delay_alu instid0(VALU_DEP_1) | instskip(NEXT) | instid1(VALU_DEP_1)
	v_cvt_u32_f32_e32 v1, v1
	v_readfirstlane_b32 s2, v1
	s_wait_alu 0xfffe
	s_delay_alu instid0(VALU_DEP_1)
	s_mul_i32 s3, s3, s2
	s_wait_alu 0xfffe
	s_mul_hi_u32 s3, s2, s3
	s_wait_alu 0xfffe
	s_add_co_i32 s2, s2, s3
	s_wait_alu 0xfffe
	s_mul_hi_u32 s2, s20, s2
	s_wait_alu 0xfffe
	s_mul_i32 s3, s2, s4
	s_add_co_i32 s12, s2, 1
	s_wait_alu 0xfffe
	s_sub_co_i32 s3, s20, s3
	s_wait_alu 0xfffe
	s_sub_co_i32 s13, s3, s4
	s_cmp_ge_u32 s3, s4
	s_cselect_b32 s2, s12, s2
	s_wait_alu 0xfffe
	s_cselect_b32 s3, s13, s3
	s_add_co_i32 s12, s2, 1
	s_wait_alu 0xfffe
	s_cmp_ge_u32 s3, s4
	s_cselect_b32 s24, s12, s2
.LBB0_4:
	s_load_b128 s[12:15], s[10:11], 0x0
	s_load_b64 s[2:3], s[0:1], 0x0
	v_cmp_lt_u64_e64 s22, s[6:7], 3
	s_mul_u64 s[18:19], s[24:25], s[4:5]
	s_delay_alu instid0(SALU_CYCLE_1) | instskip(NEXT) | instid1(SALU_CYCLE_1)
	s_sub_nc_u64 s[18:19], s[20:21], s[18:19]
	s_mul_u64 s[18:19], s[18:19], 9
	s_delay_alu instid0(VALU_DEP_1)
	s_and_b32 vcc_lo, exec_lo, s22
	s_wait_kmcnt 0x0
	s_mul_u64 s[22:23], s[14:15], s[18:19]
	s_cbranch_vccnz .LBB0_14
; %bb.5:
	s_add_nc_u64 s[26:27], s[10:11], 16
	s_add_nc_u64 s[8:9], s[8:9], 16
	s_mov_b64 s[28:29], 2
	s_mov_b32 s30, 0
.LBB0_6:                                ; =>This Inner Loop Header: Depth=1
	s_load_b64 s[34:35], s[8:9], 0x0
                                        ; implicit-def: $sgpr38_sgpr39
	s_wait_kmcnt 0x0
	s_or_b64 s[36:37], s[24:25], s[34:35]
	s_delay_alu instid0(SALU_CYCLE_1)
	s_mov_b32 s31, s37
	s_mov_b32 s37, -1
	s_wait_alu 0xfffe
	s_cmp_lg_u64 s[30:31], 0
	s_cbranch_scc0 .LBB0_8
; %bb.7:                                ;   in Loop: Header=BB0_6 Depth=1
	s_cvt_f32_u32 s31, s34
	s_cvt_f32_u32 s33, s35
	s_sub_nc_u64 s[40:41], 0, s[34:35]
	s_mov_b32 s37, 0
	s_mov_b32 s45, s30
	s_wait_alu 0xfffe
	s_fmamk_f32 s31, s33, 0x4f800000, s31
	s_wait_alu 0xfffe
	s_delay_alu instid0(SALU_CYCLE_2) | instskip(NEXT) | instid1(TRANS32_DEP_1)
	v_s_rcp_f32 s31, s31
	s_mul_f32 s31, s31, 0x5f7ffffc
	s_wait_alu 0xfffe
	s_delay_alu instid0(SALU_CYCLE_2) | instskip(NEXT) | instid1(SALU_CYCLE_3)
	s_mul_f32 s33, s31, 0x2f800000
	s_trunc_f32 s33, s33
	s_delay_alu instid0(SALU_CYCLE_3) | instskip(SKIP_2) | instid1(SALU_CYCLE_1)
	s_fmamk_f32 s31, s33, 0xcf800000, s31
	s_cvt_u32_f32 s39, s33
	s_wait_alu 0xfffe
	s_cvt_u32_f32 s38, s31
	s_wait_alu 0xfffe
	s_delay_alu instid0(SALU_CYCLE_2)
	s_mul_u64 s[42:43], s[40:41], s[38:39]
	s_wait_alu 0xfffe
	s_mul_hi_u32 s47, s38, s43
	s_mul_i32 s46, s38, s43
	s_mul_hi_u32 s36, s38, s42
	s_mul_i32 s33, s39, s42
	s_add_nc_u64 s[46:47], s[36:37], s[46:47]
	s_mul_hi_u32 s31, s39, s42
	s_mul_hi_u32 s48, s39, s43
	s_add_co_u32 s33, s46, s33
	s_wait_alu 0xfffe
	s_add_co_ci_u32 s44, s47, s31
	s_mul_i32 s42, s39, s43
	s_add_co_ci_u32 s43, s48, 0
	s_wait_alu 0xfffe
	s_add_nc_u64 s[42:43], s[44:45], s[42:43]
	s_wait_alu 0xfffe
	v_add_co_u32 v1, s31, s38, s42
	s_delay_alu instid0(VALU_DEP_1) | instskip(SKIP_1) | instid1(VALU_DEP_1)
	s_cmp_lg_u32 s31, 0
	s_add_co_ci_u32 s39, s39, s43
	v_readfirstlane_b32 s38, v1
	s_mov_b32 s43, s30
	s_wait_alu 0xfffe
	s_delay_alu instid0(VALU_DEP_1)
	s_mul_u64 s[40:41], s[40:41], s[38:39]
	s_wait_alu 0xfffe
	s_mul_hi_u32 s45, s38, s41
	s_mul_i32 s44, s38, s41
	s_mul_hi_u32 s36, s38, s40
	s_mul_i32 s33, s39, s40
	s_add_nc_u64 s[44:45], s[36:37], s[44:45]
	s_mul_hi_u32 s31, s39, s40
	s_mul_hi_u32 s38, s39, s41
	s_add_co_u32 s33, s44, s33
	s_wait_alu 0xfffe
	s_add_co_ci_u32 s42, s45, s31
	s_mul_i32 s40, s39, s41
	s_add_co_ci_u32 s41, s38, 0
	s_wait_alu 0xfffe
	s_add_nc_u64 s[40:41], s[42:43], s[40:41]
	s_wait_alu 0xfffe
	v_add_co_u32 v1, s31, v1, s40
	s_delay_alu instid0(VALU_DEP_1) | instskip(SKIP_1) | instid1(VALU_DEP_1)
	s_cmp_lg_u32 s31, 0
	s_add_co_ci_u32 s31, s39, s41
	v_readfirstlane_b32 s33, v1
	s_wait_alu 0xfffe
	s_mul_hi_u32 s39, s24, s31
	s_mul_i32 s38, s24, s31
	s_mul_hi_u32 s41, s25, s31
	s_mul_i32 s40, s25, s31
	;; [unrolled: 2-line block ×3, first 2 shown]
	s_wait_alu 0xfffe
	s_add_nc_u64 s[38:39], s[36:37], s[38:39]
	s_mul_hi_u32 s33, s25, s33
	s_wait_alu 0xfffe
	s_add_co_u32 s31, s38, s31
	s_add_co_ci_u32 s42, s39, s33
	s_add_co_ci_u32 s41, s41, 0
	s_wait_alu 0xfffe
	s_add_nc_u64 s[38:39], s[42:43], s[40:41]
	s_wait_alu 0xfffe
	s_mul_u64 s[40:41], s[34:35], s[38:39]
	s_add_nc_u64 s[42:43], s[38:39], 1
	s_wait_alu 0xfffe
	v_sub_co_u32 v1, s31, s24, s40
	s_sub_co_i32 s33, s25, s41
	s_cmp_lg_u32 s31, 0
	s_add_nc_u64 s[44:45], s[38:39], 2
	s_delay_alu instid0(VALU_DEP_1) | instskip(SKIP_2) | instid1(VALU_DEP_1)
	v_sub_co_u32 v2, s36, v1, s34
	s_sub_co_ci_u32 s33, s33, s35
	s_cmp_lg_u32 s36, 0
	v_readfirstlane_b32 s36, v2
	s_sub_co_ci_u32 s33, s33, 0
	s_delay_alu instid0(SALU_CYCLE_1) | instskip(SKIP_1) | instid1(VALU_DEP_1)
	s_cmp_ge_u32 s33, s35
	s_cselect_b32 s40, -1, 0
	s_cmp_ge_u32 s36, s34
	s_cselect_b32 s36, -1, 0
	s_cmp_eq_u32 s33, s35
	s_wait_alu 0xfffe
	s_cselect_b32 s33, s36, s40
	s_delay_alu instid0(SALU_CYCLE_1)
	s_cmp_lg_u32 s33, 0
	s_cselect_b32 s33, s44, s42
	s_cselect_b32 s36, s45, s43
	s_cmp_lg_u32 s31, 0
	v_readfirstlane_b32 s31, v1
	s_sub_co_ci_u32 s40, s25, s41
	s_wait_alu 0xfffe
	s_cmp_ge_u32 s40, s35
	s_cselect_b32 s41, -1, 0
	s_cmp_ge_u32 s31, s34
	s_cselect_b32 s31, -1, 0
	s_cmp_eq_u32 s40, s35
	s_wait_alu 0xfffe
	s_cselect_b32 s31, s31, s41
	s_wait_alu 0xfffe
	s_cmp_lg_u32 s31, 0
	s_cselect_b32 s39, s36, s39
	s_cselect_b32 s38, s33, s38
.LBB0_8:                                ;   in Loop: Header=BB0_6 Depth=1
	s_and_not1_b32 vcc_lo, exec_lo, s37
	s_cbranch_vccnz .LBB0_10
; %bb.9:                                ;   in Loop: Header=BB0_6 Depth=1
	v_cvt_f32_u32_e32 v1, s34
	s_sub_co_i32 s33, 0, s34
	s_mov_b32 s39, s30
	s_delay_alu instid0(VALU_DEP_1) | instskip(NEXT) | instid1(TRANS32_DEP_1)
	v_rcp_iflag_f32_e32 v1, v1
	v_mul_f32_e32 v1, 0x4f7ffffe, v1
	s_delay_alu instid0(VALU_DEP_1) | instskip(NEXT) | instid1(VALU_DEP_1)
	v_cvt_u32_f32_e32 v1, v1
	v_readfirstlane_b32 s31, v1
	s_delay_alu instid0(VALU_DEP_1) | instskip(NEXT) | instid1(SALU_CYCLE_1)
	s_mul_i32 s33, s33, s31
	s_mul_hi_u32 s33, s31, s33
	s_delay_alu instid0(SALU_CYCLE_1)
	s_add_co_i32 s31, s31, s33
	s_wait_alu 0xfffe
	s_mul_hi_u32 s31, s24, s31
	s_wait_alu 0xfffe
	s_mul_i32 s33, s31, s34
	s_add_co_i32 s36, s31, 1
	s_sub_co_i32 s33, s24, s33
	s_delay_alu instid0(SALU_CYCLE_1)
	s_sub_co_i32 s37, s33, s34
	s_cmp_ge_u32 s33, s34
	s_cselect_b32 s31, s36, s31
	s_cselect_b32 s33, s37, s33
	s_wait_alu 0xfffe
	s_add_co_i32 s36, s31, 1
	s_cmp_ge_u32 s33, s34
	s_cselect_b32 s38, s36, s31
.LBB0_10:                               ;   in Loop: Header=BB0_6 Depth=1
	s_load_b64 s[36:37], s[26:27], 0x0
	s_add_nc_u64 s[28:29], s[28:29], 1
	s_mul_u64 s[4:5], s[34:35], s[4:5]
	s_wait_alu 0xfffe
	v_cmp_ge_u64_e64 s31, s[28:29], s[6:7]
	s_mul_u64 s[34:35], s[38:39], s[34:35]
	s_add_nc_u64 s[26:27], s[26:27], 8
	s_wait_alu 0xfffe
	s_sub_nc_u64 s[24:25], s[24:25], s[34:35]
	s_add_nc_u64 s[8:9], s[8:9], 8
	s_and_b32 vcc_lo, exec_lo, s31
	s_wait_kmcnt 0x0
	s_wait_alu 0xfffe
	s_mul_u64 s[24:25], s[36:37], s[24:25]
	s_wait_alu 0xfffe
	s_add_nc_u64 s[22:23], s[24:25], s[22:23]
	s_cbranch_vccnz .LBB0_12
; %bb.11:                               ;   in Loop: Header=BB0_6 Depth=1
	s_mov_b64 s[24:25], s[38:39]
	s_branch .LBB0_6
.LBB0_12:
	v_cmp_lt_u64_e64 s5, s[20:21], s[4:5]
	s_mov_b64 s[24:25], 0
	s_delay_alu instid0(VALU_DEP_1)
	s_and_b32 vcc_lo, exec_lo, s5
	s_cbranch_vccnz .LBB0_14
; %bb.13:
	v_cvt_f32_u32_e32 v1, s4
	s_sub_co_i32 s8, 0, s4
	s_mov_b32 s25, 0
	s_delay_alu instid0(VALU_DEP_1) | instskip(NEXT) | instid1(TRANS32_DEP_1)
	v_rcp_iflag_f32_e32 v1, v1
	v_mul_f32_e32 v1, 0x4f7ffffe, v1
	s_delay_alu instid0(VALU_DEP_1) | instskip(NEXT) | instid1(VALU_DEP_1)
	v_cvt_u32_f32_e32 v1, v1
	v_readfirstlane_b32 s5, v1
	s_delay_alu instid0(VALU_DEP_1) | instskip(NEXT) | instid1(SALU_CYCLE_1)
	s_mul_i32 s8, s8, s5
	s_mul_hi_u32 s8, s5, s8
	s_delay_alu instid0(SALU_CYCLE_1)
	s_add_co_i32 s5, s5, s8
	s_wait_alu 0xfffe
	s_mul_hi_u32 s5, s20, s5
	s_wait_alu 0xfffe
	s_mul_i32 s8, s5, s4
	s_add_co_i32 s9, s5, 1
	s_sub_co_i32 s8, s20, s8
	s_delay_alu instid0(SALU_CYCLE_1)
	s_sub_co_i32 s20, s8, s4
	s_cmp_ge_u32 s8, s4
	s_cselect_b32 s5, s9, s5
	s_wait_alu 0xfffe
	s_cselect_b32 s8, s20, s8
	s_add_co_i32 s9, s5, 1
	s_cmp_ge_u32 s8, s4
	s_cselect_b32 s24, s9, s5
.LBB0_14:
	s_load_b64 s[4:5], s[0:1], 0x58
	s_lshl_b64 s[0:1], s[6:7], 3
	v_mul_hi_u32 v4, 0x1c71c71d, v0
	s_add_nc_u64 s[0:1], s[10:11], s[0:1]
	s_add_nc_u64 s[8:9], s[18:19], 9
	s_load_b64 s[6:7], s[0:1], 0x0
	v_cmp_le_u64_e64 s8, s[8:9], s[16:17]
	v_cmp_gt_u32_e64 s0, 0xfc, v0
                                        ; implicit-def: $vgpr12
                                        ; implicit-def: $vgpr16
                                        ; implicit-def: $vgpr14
                                        ; implicit-def: $vgpr17
                                        ; implicit-def: $vgpr13
                                        ; implicit-def: $vgpr18
                                        ; implicit-def: $vgpr15
                                        ; implicit-def: $vgpr19
	s_delay_alu instid0(VALU_DEP_3)
	v_mul_u32_u24_e32 v1, 9, v4
	v_add_nc_u32_e32 v11, 28, v4
	v_add_nc_u32_e32 v10, 56, v4
	;; [unrolled: 1-line block ×7, first 2 shown]
	v_sub_nc_u32_e32 v3, v0, v1
	s_and_b32 s9, s0, s8
	s_wait_kmcnt 0x0
	s_mul_u64 s[6:7], s[6:7], s[24:25]
	s_wait_alu 0xfffe
	s_add_nc_u64 s[6:7], s[6:7], s[22:23]
	s_and_saveexec_b32 s1, s9
	s_cbranch_execz .LBB0_16
; %bb.15:
	v_mad_co_u64_u32 v[1:2], null, s14, v3, 0
	v_mad_co_u64_u32 v[14:15], null, s12, v11, 0
	;; [unrolled: 1-line block ×3, first 2 shown]
	s_wait_alu 0xfffe
	s_lshl_b64 s[10:11], s[6:7], 2
	v_mad_co_u64_u32 v[23:24], null, s12, v7, 0
	s_delay_alu instid0(VALU_DEP_4)
	v_mad_co_u64_u32 v[16:17], null, s15, v3, v[2:3]
	v_mad_co_u64_u32 v[17:18], null, s12, v10, 0
	v_mov_b32_e32 v2, v15
	v_mad_co_u64_u32 v[19:20], null, s13, v4, v[13:14]
	s_add_nc_u64 s[10:11], s[4:5], s[10:11]
	v_mad_co_u64_u32 v[25:26], null, s12, v6, 0
	s_delay_alu instid0(VALU_DEP_4) | instskip(SKIP_1) | instid1(VALU_DEP_4)
	v_mov_b32_e32 v15, v18
	v_mad_co_u64_u32 v[20:21], null, s13, v11, v[2:3]
	v_dual_mov_b32 v2, v16 :: v_dual_mov_b32 v13, v19
	v_mad_co_u64_u32 v[21:22], null, s12, v9, 0
	s_delay_alu instid0(VALU_DEP_4) | instskip(NEXT) | instid1(VALU_DEP_3)
	v_mad_co_u64_u32 v[18:19], null, s13, v10, v[15:16]
	v_lshlrev_b64_e32 v[1:2], 2, v[1:2]
	v_mov_b32_e32 v15, v20
	v_lshlrev_b64_e32 v[12:13], 2, v[12:13]
	s_delay_alu instid0(VALU_DEP_3) | instskip(NEXT) | instid1(VALU_DEP_4)
	v_add_co_u32 v32, vcc_lo, s10, v1
	v_add_co_ci_u32_e32 v33, vcc_lo, s11, v2, vcc_lo
	s_delay_alu instid0(VALU_DEP_4)
	v_lshlrev_b64_e32 v[1:2], 2, v[14:15]
	v_mov_b32_e32 v14, v22
	v_mad_co_u64_u32 v[15:16], null, s12, v8, 0
	v_add_co_u32 v12, vcc_lo, v32, v12
	s_wait_alu 0xfffd
	v_add_co_ci_u32_e32 v13, vcc_lo, v33, v13, vcc_lo
	v_add_co_u32 v1, vcc_lo, v32, v1
	s_delay_alu instid0(VALU_DEP_4)
	v_mad_co_u64_u32 v[19:20], null, s13, v9, v[14:15]
	v_mov_b32_e32 v14, v16
	v_lshlrev_b64_e32 v[16:17], 2, v[17:18]
	v_mov_b32_e32 v18, v24
	s_wait_alu 0xfffd
	v_add_co_ci_u32_e32 v2, vcc_lo, v33, v2, vcc_lo
	v_mov_b32_e32 v22, v19
	v_mad_co_u64_u32 v[19:20], null, s13, v8, v[14:15]
	v_add_co_u32 v30, vcc_lo, v32, v16
	v_mov_b32_e32 v14, v26
	s_wait_alu 0xfffd
	v_add_co_ci_u32_e32 v31, vcc_lo, v33, v17, vcc_lo
	s_delay_alu instid0(VALU_DEP_4)
	v_mad_co_u64_u32 v[27:28], null, s13, v7, v[18:19]
	v_mad_co_u64_u32 v[28:29], null, s12, v5, 0
	v_mov_b32_e32 v16, v19
	v_mad_co_u64_u32 v[19:20], null, s13, v6, v[14:15]
	v_lshlrev_b64_e32 v[17:18], 2, v[21:22]
	v_mov_b32_e32 v24, v27
	s_delay_alu instid0(VALU_DEP_4) | instskip(SKIP_1) | instid1(VALU_DEP_4)
	v_lshlrev_b64_e32 v[15:16], 2, v[15:16]
	v_mov_b32_e32 v14, v29
	v_add_co_u32 v17, vcc_lo, v32, v17
	s_delay_alu instid0(VALU_DEP_2)
	v_mad_co_u64_u32 v[20:21], null, s13, v5, v[14:15]
	v_lshlrev_b64_e32 v[21:22], 2, v[23:24]
	v_mov_b32_e32 v26, v19
	s_wait_alu 0xfffd
	v_add_co_ci_u32_e32 v18, vcc_lo, v33, v18, vcc_lo
	v_add_co_u32 v23, vcc_lo, v32, v15
	v_mov_b32_e32 v29, v20
	s_wait_alu 0xfffd
	v_add_co_ci_u32_e32 v24, vcc_lo, v33, v16, vcc_lo
	v_lshlrev_b64_e32 v[14:15], 2, v[25:26]
	v_add_co_u32 v19, vcc_lo, v32, v21
	s_wait_alu 0xfffd
	v_add_co_ci_u32_e32 v20, vcc_lo, v33, v22, vcc_lo
	v_lshlrev_b64_e32 v[21:22], 2, v[28:29]
	s_delay_alu instid0(VALU_DEP_4) | instskip(SKIP_2) | instid1(VALU_DEP_3)
	v_add_co_u32 v25, vcc_lo, v32, v14
	s_wait_alu 0xfffd
	v_add_co_ci_u32_e32 v26, vcc_lo, v33, v15, vcc_lo
	v_add_co_u32 v21, vcc_lo, v32, v21
	s_wait_alu 0xfffd
	v_add_co_ci_u32_e32 v22, vcc_lo, v33, v22, vcc_lo
	s_clause 0x7
	global_load_b32 v12, v[12:13], off
	global_load_b32 v13, v[1:2], off
	;; [unrolled: 1-line block ×8, first 2 shown]
.LBB0_16:
	s_or_b32 exec_lo, exec_lo, s1
	v_add_co_u32 v1, s1, s18, v3
	s_delay_alu instid0(VALU_DEP_1) | instskip(SKIP_1) | instid1(VALU_DEP_1)
	v_add_co_ci_u32_e64 v2, null, s19, 0, s1
	s_xor_b32 s1, s8, -1
	v_cmp_gt_u64_e32 vcc_lo, s[16:17], v[1:2]
	s_and_b32 s9, s0, vcc_lo
	s_wait_alu 0xfffe
	s_and_b32 s1, s1, s9
	s_wait_alu 0xfffe
	s_and_saveexec_b32 s9, s1
	s_cbranch_execz .LBB0_18
; %bb.17:
	s_wait_loadcnt 0x6
	v_mad_co_u64_u32 v[12:13], null, s14, v3, 0
	s_wait_loadcnt 0x4
	v_mad_co_u64_u32 v[14:15], null, s12, v4, 0
	;; [unrolled: 2-line block ×3, first 2 shown]
	s_lshl_b64 s[10:11], s[6:7], 2
	v_mad_co_u64_u32 v[25:26], null, s12, v5, 0
	s_delay_alu instid0(VALU_DEP_3) | instskip(SKIP_3) | instid1(VALU_DEP_1)
	v_dual_mov_b32 v2, v13 :: v_dual_mov_b32 v13, v15
	s_wait_alu 0xfffe
	s_add_nc_u64 s[10:11], s[4:5], s[10:11]
	s_wait_loadcnt 0x0
	v_mad_co_u64_u32 v[18:19], null, s15, v3, v[2:3]
	v_mad_co_u64_u32 v[19:20], null, s12, v10, 0
	;; [unrolled: 1-line block ×3, first 2 shown]
	s_delay_alu instid0(VALU_DEP_3) | instskip(NEXT) | instid1(VALU_DEP_1)
	v_dual_mov_b32 v2, v17 :: v_dual_mov_b32 v13, v18
	v_mad_co_u64_u32 v[22:23], null, s13, v11, v[2:3]
	v_mad_co_u64_u32 v[23:24], null, s12, v9, 0
	s_delay_alu instid0(VALU_DEP_4) | instskip(NEXT) | instid1(VALU_DEP_4)
	v_dual_mov_b32 v2, v20 :: v_dual_mov_b32 v15, v21
	v_lshlrev_b64_e32 v[11:12], 2, v[12:13]
	s_delay_alu instid0(VALU_DEP_4) | instskip(NEXT) | instid1(VALU_DEP_3)
	v_mov_b32_e32 v17, v22
	v_mad_co_u64_u32 v[20:21], null, s13, v10, v[2:3]
	v_mov_b32_e32 v2, v24
	v_lshlrev_b64_e32 v[13:14], 2, v[14:15]
	s_wait_alu 0xfffe
	v_add_co_u32 v27, s1, s10, v11
	s_wait_alu 0xf1ff
	v_add_co_ci_u32_e64 v28, s1, s11, v12, s1
	v_lshlrev_b64_e32 v[10:11], 2, v[16:17]
	s_delay_alu instid0(VALU_DEP_3)
	v_add_co_u32 v12, s1, v27, v13
	v_mad_co_u64_u32 v[16:17], null, s13, v9, v[2:3]
	s_wait_alu 0xf1ff
	v_add_co_ci_u32_e64 v13, s1, v28, v14, s1
	v_mad_co_u64_u32 v[14:15], null, s12, v8, 0
	v_mad_co_u64_u32 v[17:18], null, s12, v7, 0
	v_add_co_u32 v9, s1, v27, v10
	s_wait_alu 0xf1ff
	v_add_co_ci_u32_e64 v10, s1, v28, v11, s1
	s_delay_alu instid0(VALU_DEP_4) | instskip(SKIP_2) | instid1(VALU_DEP_3)
	v_mov_b32_e32 v2, v15
	v_mad_co_u64_u32 v[21:22], null, s12, v6, 0
	v_dual_mov_b32 v11, v18 :: v_dual_mov_b32 v24, v16
	v_mad_co_u64_u32 v[15:16], null, s13, v8, v[2:3]
	v_lshlrev_b64_e32 v[19:20], 2, v[19:20]
	s_delay_alu instid0(VALU_DEP_3) | instskip(SKIP_2) | instid1(VALU_DEP_4)
	v_mad_co_u64_u32 v[7:8], null, s13, v7, v[11:12]
	v_mov_b32_e32 v2, v22
	v_lshlrev_b64_e32 v[22:23], 2, v[23:24]
	v_add_co_u32 v19, s1, v27, v19
	s_wait_alu 0xf1ff
	v_add_co_ci_u32_e64 v20, s1, v28, v20, s1
	v_mov_b32_e32 v18, v7
	v_mad_co_u64_u32 v[6:7], null, s13, v6, v[2:3]
	v_mov_b32_e32 v2, v26
	v_add_co_u32 v7, s1, v27, v22
	s_wait_alu 0xf1ff
	v_add_co_ci_u32_e64 v8, s1, v28, v23, s1
	s_delay_alu instid0(VALU_DEP_3) | instskip(SKIP_3) | instid1(VALU_DEP_3)
	v_mad_co_u64_u32 v[23:24], null, s13, v5, v[2:3]
	v_lshlrev_b64_e32 v[14:15], 2, v[14:15]
	v_lshlrev_b64_e32 v[16:17], 2, v[17:18]
	v_mov_b32_e32 v22, v6
	v_add_co_u32 v5, s1, v27, v14
	v_mov_b32_e32 v26, v23
	s_wait_alu 0xf1ff
	v_add_co_ci_u32_e64 v6, s1, v28, v15, s1
	v_lshlrev_b64_e32 v[14:15], 2, v[21:22]
	v_add_co_u32 v21, s1, v27, v16
	s_wait_alu 0xf1ff
	v_add_co_ci_u32_e64 v22, s1, v28, v17, s1
	v_lshlrev_b64_e32 v[16:17], 2, v[25:26]
	s_delay_alu instid0(VALU_DEP_4) | instskip(SKIP_2) | instid1(VALU_DEP_3)
	v_add_co_u32 v23, s1, v27, v14
	s_wait_alu 0xf1ff
	v_add_co_ci_u32_e64 v24, s1, v28, v15, s1
	v_add_co_u32 v25, s1, v27, v16
	s_wait_alu 0xf1ff
	v_add_co_ci_u32_e64 v26, s1, v28, v17, s1
	s_clause 0x7
	global_load_b32 v12, v[12:13], off
	global_load_b32 v13, v[9:10], off
	;; [unrolled: 1-line block ×8, first 2 shown]
.LBB0_18:
	s_wait_alu 0xfffe
	s_or_b32 exec_lo, exec_lo, s9
	s_wait_loadcnt 0x3
	v_pk_add_f16 v2, v12, v16 neg_lo:[0,1] neg_hi:[0,1]
	s_wait_loadcnt 0x2
	v_pk_add_f16 v5, v13, v18 neg_lo:[0,1] neg_hi:[0,1]
	;; [unrolled: 2-line block ×4, first 2 shown]
	v_lshrrev_b32_e32 v8, 16, v2
	v_lshrrev_b32_e32 v9, 16, v5
	;; [unrolled: 1-line block ×3, first 2 shown]
	s_delay_alu instid0(VALU_DEP_4)
	v_lshrrev_b32_e32 v11, 16, v7
	v_pk_fma_f16 v12, v12, 2.0, v2 op_sel_hi:[1,0,1] neg_lo:[0,0,1] neg_hi:[0,0,1]
	v_sub_f16_e32 v16, v8, v6
	v_sub_f16_e32 v17, v9, v7
	v_pk_fma_f16 v6, v14, 2.0, v6 op_sel_hi:[1,0,1] neg_lo:[0,0,1] neg_hi:[0,0,1]
	v_add_f16_e32 v11, v5, v11
	v_add_f16_e32 v10, v2, v10
	v_fma_f16 v8, v8, 2.0, -v16
	v_fma_f16 v18, v9, 2.0, -v17
	v_pk_fma_f16 v9, v13, 2.0, v5 op_sel_hi:[1,0,1] neg_lo:[0,0,1] neg_hi:[0,0,1]
	v_pk_fma_f16 v13, v15, 2.0, v7 op_sel_hi:[1,0,1] neg_lo:[0,0,1] neg_hi:[0,0,1]
	v_fma_f16 v5, v5, 2.0, -v11
	v_pk_add_f16 v19, v12, v6 neg_lo:[0,1] neg_hi:[0,1]
	v_fmamk_f16 v7, v18, 0xb9a8, v8
	v_add_f16_e32 v8, v8, v8
	v_pk_add_f16 v6, v9, v13 neg_lo:[0,1] neg_hi:[0,1]
	v_fma_f16 v2, v2, 2.0, -v10
	v_pk_fma_f16 v12, v12, 2.0, v19 op_sel_hi:[1,0,1] neg_lo:[0,0,1] neg_hi:[0,0,1]
	v_fmac_f16_e32 v7, 0xb9a8, v5
	v_bfi_b32 v20, 0xffff, v8, v19
	v_pk_fma_f16 v13, v9, 2.0, v6 op_sel_hi:[1,0,1] neg_lo:[0,0,1] neg_hi:[0,0,1]
	v_alignbit_b32 v9, s0, v6, 16
	v_fmamk_f16 v14, v11, 0x39a8, v10
	v_pack_b32_f16 v6, v7, v6
	v_fmamk_f16 v15, v17, 0x39a8, v16
	v_fmamk_f16 v8, v5, 0xb9a8, v2
	v_pk_add_f16 v5, v19, v9
	v_pk_add_f16 v13, v12, v13 neg_lo:[0,1] neg_hi:[0,1]
	v_pk_add_f16 v9, v20, v6 neg_lo:[0,1] neg_hi:[0,1]
	v_fmac_f16_e32 v14, 0x39a8, v17
	v_fmac_f16_e32 v15, 0xb9a8, v11
	;; [unrolled: 1-line block ×3, first 2 shown]
	v_pk_fma_f16 v6, v12, 2.0, v13 op_sel_hi:[1,0,1] neg_lo:[0,0,1] neg_hi:[0,0,1]
	v_bfi_b32 v17, 0xffff, v5, v9
	v_fma_f16 v11, v10, 2.0, -v14
	v_fma_f16 v10, v16, 2.0, -v15
	;; [unrolled: 1-line block ×3, first 2 shown]
	v_lshlrev_b32_e32 v2, 2, v3
	v_pk_fma_f16 v12, v19, 2.0, v17 op_sel_hi:[1,0,1] neg_lo:[0,0,1] neg_hi:[0,0,1]
	s_and_saveexec_b32 s1, s0
	s_cbranch_execz .LBB0_20
; %bb.19:
	v_mul_u32_u24_e32 v18, 0x120, v4
	v_perm_b32 v19, v9, v16, 0x5040100
	v_perm_b32 v20, v10, v11, 0x5040100
	;; [unrolled: 1-line block ×4, first 2 shown]
	v_add3_u32 v18, 0, v18, v2
	ds_store_2addr_b32 v18, v6, v19 offset1:9
	ds_store_2addr_b32 v18, v12, v20 offset0:18 offset1:27
	ds_store_2addr_b32 v18, v13, v21 offset0:36 offset1:45
	;; [unrolled: 1-line block ×3, first 2 shown]
.LBB0_20:
	s_wait_alu 0xfffe
	s_or_b32 exec_lo, exec_lo, s1
	v_cmp_gt_u32_e64 s0, 0x120, v0
	v_alignbit_b32 v13, v13, v13, 16
	v_perm_b32 v14, v5, v16, 0x5040100
	v_mul_u32_u24_e32 v5, 36, v4
	global_wb scope:SCOPE_SE
	s_wait_dscnt 0x0
	s_barrier_signal -1
	s_barrier_wait -1
	global_inv scope:SCOPE_SE
	s_and_saveexec_b32 s1, s0
	s_cbranch_execz .LBB0_22
; %bb.21:
	v_add3_u32 v7, 0, v5, v2
	ds_load_b32 v11, v7 offset:3456
	ds_load_b32 v9, v7 offset:4608
	;; [unrolled: 1-line block ×5, first 2 shown]
	ds_load_b32 v6, v7
	ds_load_b32 v12, v7 offset:2304
	s_wait_dscnt 0x6
	v_lshrrev_b32_e32 v10, 16, v11
	s_wait_dscnt 0x5
	v_alignbit_b32 v13, v9, v9, 16
	s_wait_dscnt 0x4
	v_lshrrev_b32_e32 v7, 16, v8
	s_wait_dscnt 0x2
	v_perm_b32 v14, v15, v16, 0x5040100
	v_perm_b32 v9, v15, v16, 0x7060302
.LBB0_22:
	s_wait_alu 0xfffe
	s_or_b32 exec_lo, exec_lo, s1
	global_wb scope:SCOPE_SE
	s_wait_dscnt 0x0
	s_barrier_signal -1
	s_barrier_wait -1
	global_inv scope:SCOPE_SE
	s_and_saveexec_b32 s1, s0
	s_cbranch_execz .LBB0_24
; %bb.23:
	v_and_b32_e32 v21, 7, v4
	v_lshrrev_b32_e32 v22, 3, v4
	v_lshrrev_b32_e32 v24, 16, v14
	;; [unrolled: 1-line block ×3, first 2 shown]
	v_alignbit_b32 v25, s0, v12, 16
	v_mul_u32_u24_e32 v15, 6, v21
	v_mul_u32_u24_e32 v22, 56, v22
	s_delay_alu instid0(VALU_DEP_2) | instskip(NEXT) | instid1(VALU_DEP_2)
	v_lshlrev_b32_e32 v19, 2, v15
	v_or_b32_e32 v21, v22, v21
	v_alignbit_b32 v22, s0, v13, 16
	s_clause 0x1
	global_load_b128 v[15:18], v19, s[2:3]
	global_load_b64 v[19:20], v19, s[2:3] offset:16
	v_mul_u32_u24_e32 v21, 36, v21
	s_delay_alu instid0(VALU_DEP_1) | instskip(NEXT) | instid1(VALU_DEP_1)
	v_add3_u32 v21, 0, v21, v2
	v_add_nc_u32_e32 v26, 0x400, v21
	s_wait_loadcnt 0x1
	v_lshrrev_b32_e32 v27, 16, v15
	v_lshrrev_b32_e32 v28, 16, v17
	s_wait_loadcnt 0x0
	v_lshrrev_b32_e32 v29, 16, v19
	v_lshrrev_b32_e32 v30, 16, v20
	v_perm_b32 v32, v20, v15, 0x7060302
	v_pk_mul_f16 v36, v13, v18
	v_alignbit_b32 v37, s0, v16, 16
	v_perm_b32 v31, v20, v15, 0x5040100
	v_alignbit_b32 v33, s0, v18, 16
	v_mul_f16_e32 v34, v11, v17
	v_pk_mul_f16 v35, v12, v16
	v_pk_mul_f16 v32, v9, v32
	v_mul_f16_e32 v38, v10, v28
	v_mul_f16_e32 v40, v7, v29
	;; [unrolled: 1-line block ×5, first 2 shown]
	v_alignbit_b32 v28, s0, v36, 16
	v_mul_f16_e32 v29, v8, v29
	v_pk_mul_f16 v12, v12, v37
	v_pk_mul_f16 v22, v22, v18
	;; [unrolled: 1-line block ×3, first 2 shown]
	v_lshrrev_b32_e32 v39, 16, v35
	v_pk_fma_f16 v14, v14, v31, v32
	v_fmac_f16_e32 v40, v8, v19
	v_fma_f16 v8, v23, v20, -v24
	v_fma_f16 v9, v9, v15, -v27
	;; [unrolled: 1-line block ×3, first 2 shown]
	v_pk_fma_f16 v11, v13, v18, v28 neg_lo:[0,0,1] neg_hi:[0,0,1]
	v_fma_f16 v7, v7, v19, -v29
	v_pk_fma_f16 v12, v25, v16, v12 neg_lo:[0,0,1] neg_hi:[0,0,1]
	v_add_f16_e32 v30, v35, v39
	v_alignbit_b32 v13, s0, v14, 16
	v_lshrrev_b32_e32 v15, 16, v14
	v_sub_f16_e32 v18, v9, v8
	v_sub_f16_e32 v19, v11, v10
	;; [unrolled: 1-line block ×3, first 2 shown]
	v_pack_b32_f16 v9, v22, v9
	v_pack_b32_f16 v8, v33, v8
	;; [unrolled: 1-line block ×4, first 2 shown]
	v_add_f16_e32 v17, v30, v40
	v_sub_f16_e32 v15, v14, v15
	v_pk_add_f16 v13, v14, v13
	v_sub_f16_e32 v14, v18, v19
	v_sub_f16_e32 v22, v19, v20
	v_add_f16_e32 v19, v19, v20
	v_sub_f16_e32 v20, v20, v18
	v_pk_add_f16 v8, v9, v8
	v_pk_add_f16 v7, v12, v7
	v_sub_f16_e32 v16, v30, v40
	v_pack_b32_f16 v9, v17, v10
	v_mul_f16_e32 v10, 0x3846, v22
	v_mul_f16_e32 v22, 0xbb00, v20
	v_sub_f16_e32 v23, v8, v7
	v_pack_b32_f16 v11, v13, v11
	v_add_f16_e32 v12, v19, v18
	v_sub_f16_e32 v18, v16, v15
	v_lshrrev_b32_e32 v24, 16, v8
	v_lshrrev_b32_e32 v25, 16, v7
	v_pk_add_f16 v7, v7, v8
	v_fmamk_f16 v8, v14, 0xb574, v10
	v_fma_f16 v14, v14, 0x3574, -v22
	v_sub_f16_e32 v22, v23, v16
	v_add_f16_e32 v16, v23, v16
	v_pk_add_f16 v9, v9, v11
	v_sub_f16_e32 v19, v17, v13
	v_fma_f16 v10, v20, 0xbb00, -v10
	v_sub_f16_e32 v20, v15, v23
	v_sub_f16_e32 v11, v13, v7
	;; [unrolled: 1-line block ×3, first 2 shown]
	v_add_f16_e32 v15, v16, v15
	v_lshrrev_b32_e32 v16, 16, v9
	v_pk_add_f16 v7, v9, v7
	v_mul_f16_e32 v27, 0xbb00, v18
	v_fmac_f16_e32 v8, 0xb70e, v12
	v_fmac_f16_e32 v14, 0xb70e, v12
	;; [unrolled: 1-line block ×3, first 2 shown]
	v_mul_f16_e32 v12, 0x3846, v22
	v_mul_f16_e32 v9, 0x3a52, v11
	v_mul_f16_e32 v11, 0x2b26, v13
	v_sub_f16_e32 v23, v24, v16
	v_pk_add_f16 v6, v6, v7
	v_sub_f16_e32 v16, v16, v25
	v_sub_f16_e32 v17, v25, v24
	v_fma_f16 v22, v20, 0x3574, -v27
	v_fmamk_f16 v20, v20, 0xb574, v12
	v_lshrrev_b32_e32 v24, 16, v7
	v_fmamk_f16 v13, v13, 0x2b26, v9
	v_fma_f16 v9, v19, 0xb9e0, -v9
	v_fma_f16 v12, v18, 0xbb00, -v12
	;; [unrolled: 1-line block ×3, first 2 shown]
	v_mul_f16_e32 v18, 0x3a52, v23
	v_lshrrev_b32_e32 v19, 16, v6
	v_mul_f16_e32 v23, 0x2b26, v16
	v_fmac_f16_e32 v22, 0xb70e, v15
	v_fmac_f16_e32 v20, 0xb70e, v15
	v_fmamk_f16 v7, v7, 0xbcab, v6
	v_fmac_f16_e32 v12, 0xb70e, v15
	v_fmamk_f16 v15, v16, 0x2b26, v18
	v_fmac_f16_e32 v19, 0xbcab, v24
	v_fma_f16 v16, v17, 0xb9e0, -v18
	v_fma_f16 v17, v17, 0x39e0, -v23
	v_add_f16_e32 v13, v13, v7
	v_add_f16_e32 v9, v9, v7
	;; [unrolled: 1-line block ×6, first 2 shown]
	v_sub_f16_e32 v15, v13, v8
	v_add_f16_e32 v19, v10, v7
	v_sub_f16_e32 v7, v7, v10
	v_add_f16_e32 v8, v8, v13
	v_add_f16_e32 v10, v20, v11
	v_sub_f16_e32 v11, v11, v20
	v_sub_f16_e32 v18, v9, v14
	v_add_f16_e32 v9, v14, v9
	v_sub_f16_e32 v13, v16, v22
	v_add_f16_e32 v14, v12, v17
	;; [unrolled: 2-line block ×3, first 2 shown]
	v_pack_b32_f16 v8, v8, v11
	v_pack_b32_f16 v9, v9, v13
	;; [unrolled: 1-line block ×6, first 2 shown]
	ds_store_2addr_b32 v21, v6, v8 offset1:72
	ds_store_2addr_b32 v21, v9, v7 offset0:144 offset1:216
	ds_store_2addr_b32 v26, v11, v12 offset0:32 offset1:104
	ds_store_b32 v21, v10 offset:1728
.LBB0_24:
	s_wait_alu 0xfffe
	s_or_b32 exec_lo, exec_lo, s1
	s_or_b32 s0, s8, vcc_lo
	global_wb scope:SCOPE_SE
	s_wait_dscnt 0x0
	s_barrier_signal -1
	s_barrier_wait -1
	global_inv scope:SCOPE_SE
	s_wait_alu 0xfffe
	s_and_saveexec_b32 s1, s0
	s_cbranch_execz .LBB0_26
; %bb.25:
	v_mul_hi_u32 v6, 0x4924925, v4
	v_mad_co_u64_u32 v[9:10], null, s14, v3, 0
	v_add3_u32 v5, 0, v5, v2
	v_mul_hi_u32_u24_e32 v0, 0x820821, v0
	s_lshl_b64 s[0:1], s[6:7], 2
	v_mul_lo_u32 v13, 0xffffffc8, v1
	s_wait_alu 0xfffe
	s_add_nc_u64 s[0:1], s[4:5], s[0:1]
	v_mul_u32_u24_e32 v6, 56, v6
	s_delay_alu instid0(VALU_DEP_1) | instskip(SKIP_1) | instid1(VALU_DEP_2)
	v_sub_nc_u32_e32 v4, v4, v6
	v_mov_b32_e32 v2, v10
	v_mad_u32_u24 v14, 0xe0, v0, v4
	s_delay_alu instid0(VALU_DEP_2) | instskip(SKIP_2) | instid1(VALU_DEP_4)
	v_mad_co_u64_u32 v[2:3], null, s15, v3, v[2:3]
	v_add_nc_u32_e32 v3, 0xa8, v4
	v_mul_u32_u24_e32 v6, 3, v4
	v_add_nc_u32_e32 v22, 0xa8, v14
	v_mul_lo_u32 v4, v4, v1
	v_add_nc_u32_e32 v21, 0x70, v14
	v_mul_lo_u32 v19, v3, v1
	v_mov_b32_e32 v10, v2
	v_mad_co_u64_u32 v[11:12], null, s12, v22, 0
	v_add_nc_u32_e32 v20, 56, v14
	v_mad_co_u64_u32 v[0:1], null, s12, v14, 0
	s_delay_alu instid0(VALU_DEP_4)
	v_lshlrev_b64_e32 v[2:3], 2, v[9:10]
	v_mad_co_u64_u32 v[9:10], null, s12, v21, 0
	v_lshlrev_b32_e32 v6, 2, v6
	v_lshrrev_b32_e32 v27, 8, v4
	v_and_b32_e32 v28, 31, v4
	s_wait_alu 0xfffe
	v_add_co_u32 v33, vcc_lo, s0, v2
	s_wait_alu 0xfffd
	v_add_co_ci_u32_e32 v34, vcc_lo, s1, v3, vcc_lo
	v_mov_b32_e32 v3, v10
	global_load_b96 v[6:8], v6, s[2:3] offset:192
	ds_load_b32 v15, v5
	ds_load_b32 v16, v5 offset:6048
	ds_load_b32 v17, v5 offset:4032
	;; [unrolled: 1-line block ×3, first 2 shown]
	v_lshrrev_b32_e32 v29, 3, v4
	v_mad_co_u64_u32 v[4:5], null, s12, v20, 0
	v_lshrrev_b32_e32 v30, 8, v19
	v_and_b32_e32 v31, 31, v19
	v_lshrrev_b32_e32 v32, 3, v19
	v_add_nc_u32_e32 v19, v19, v13
	v_mad_co_u64_u32 v[1:2], null, s13, v14, v[1:2]
	v_and_b32_e32 v30, 0x7c, v30
	v_and_b32_e32 v27, 0x7c, v27
	v_and_b32_e32 v29, 0x7c, v29
	v_and_b32_e32 v32, 0x7c, v32
	v_lshrrev_b32_e32 v35, 8, v19
	v_and_b32_e32 v36, 31, v19
	v_lshrrev_b32_e32 v37, 3, v19
	v_dual_mov_b32 v2, v5 :: v_dual_add_nc_u32 v13, v19, v13
	s_add_co_i32 s2, 0, 0x1f80
	s_wait_alu 0xfffe
	v_dual_mov_b32 v5, v12 :: v_dual_add_nc_u32 v10, s2, v30
	v_lshl_add_u32 v31, v31, 2, 0
	v_add_nc_u32_e32 v19, s2, v27
	v_add_nc_u32_e32 v27, s2, v29
	;; [unrolled: 1-line block ×3, first 2 shown]
	v_and_b32_e32 v30, 0x7c, v35
	v_lshl_add_u32 v32, v36, 2, 0
	v_and_b32_e32 v35, 0x7c, v37
	v_lshrrev_b32_e32 v36, 8, v13
	v_and_b32_e32 v37, 31, v13
	v_lshrrev_b32_e32 v38, 3, v13
	v_mad_co_u64_u32 v[12:13], null, s13, v20, v[2:3]
	v_mad_co_u64_u32 v[2:3], null, s13, v21, v[3:4]
	v_and_b32_e32 v3, 0x7c, v36
	v_lshl_add_u32 v28, v28, 2, 0
	s_wait_dscnt 0x1
	v_lshrrev_b32_e32 v24, 16, v17
	s_wait_dscnt 0x0
	v_lshrrev_b32_e32 v25, 16, v18
	v_lshrrev_b32_e32 v26, 16, v16
	;; [unrolled: 1-line block ×3, first 2 shown]
	v_lshlrev_b64_e32 v[0:1], 2, v[0:1]
	s_delay_alu instid0(VALU_DEP_1) | instskip(SKIP_1) | instid1(VALU_DEP_2)
	v_add_co_u32 v0, vcc_lo, v33, v0
	s_wait_alu 0xfffd
	v_add_co_ci_u32_e32 v1, vcc_lo, v34, v1, vcc_lo
	s_wait_loadcnt 0x0
	v_mad_co_u64_u32 v[13:14], null, s13, v22, v[5:6]
	ds_load_b32 v14, v10 offset:256
	ds_load_b32 v20, v31 offset:8064
	;; [unrolled: 1-line block ×3, first 2 shown]
	v_add_nc_u32_e32 v22, s2, v30
	v_and_b32_e32 v31, 0x7c, v38
	v_dual_mov_b32 v5, v12 :: v_dual_mov_b32 v10, v2
	v_dual_mov_b32 v12, v13 :: v_dual_add_nc_u32 v29, s2, v35
	v_add_nc_u32_e32 v13, s2, v3
	v_lshl_add_u32 v30, v37, 2, 0
	v_add_nc_u32_e32 v31, s2, v31
	v_lshlrev_b64_e32 v[2:3], 2, v[4:5]
	v_lshlrev_b64_e32 v[4:5], 2, v[9:10]
	;; [unrolled: 1-line block ×3, first 2 shown]
	ds_load_b32 v11, v22 offset:256
	ds_load_b32 v12, v32 offset:8064
	;; [unrolled: 1-line block ×9, first 2 shown]
	v_add_co_u32 v2, vcc_lo, v33, v2
	s_wait_dscnt 0xb
	v_lshrrev_b32_e32 v38, 16, v14
	s_wait_dscnt 0xa
	v_lshrrev_b32_e32 v31, 16, v20
	;; [unrolled: 2-line block ×3, first 2 shown]
	s_wait_alu 0xfffd
	v_add_co_ci_u32_e32 v3, vcc_lo, v34, v3, vcc_lo
	v_add_co_u32 v4, vcc_lo, v33, v4
	s_delay_alu instid0(VALU_DEP_3)
	v_mul_f16_e32 v35, v31, v32
	v_mul_f16_e32 v32, v20, v32
	s_wait_dscnt 0x6
	v_lshrrev_b32_e32 v37, 16, v22
	v_lshrrev_b32_e32 v36, 16, v12
	;; [unrolled: 1-line block ×3, first 2 shown]
	v_fma_f16 v20, v20, v21, -v35
	v_fmac_f16_e32 v32, v31, v21
	v_mul_f16_e32 v31, v12, v37
	v_mul_f16_e32 v21, v36, v37
	s_wait_dscnt 0x4
	v_lshrrev_b32_e32 v37, 16, v29
	s_wait_dscnt 0x3
	v_lshrrev_b32_e32 v40, 16, v30
	;; [unrolled: 2-line block ×4, first 2 shown]
	v_mul_f16_e32 v44, v32, v38
	v_mul_f16_e32 v38, v20, v38
	v_fmac_f16_e32 v31, v36, v22
	v_fma_f16 v12, v12, v22, -v21
	v_mul_f16_e32 v21, v37, v40
	v_mul_f16_e32 v22, v29, v40
	;; [unrolled: 1-line block ×4, first 2 shown]
	v_fma_f16 v20, v14, v20, -v44
	v_fmac_f16_e32 v38, v14, v32
	v_mul_f16_e32 v14, v31, v39
	v_lshrrev_b32_e32 v35, 16, v13
	v_mul_f16_e32 v32, v12, v39
	v_fma_f16 v21, v29, v30, -v21
	v_fmac_f16_e32 v22, v37, v30
	v_fma_f16 v28, v28, v27, -v36
	v_fmac_f16_e32 v40, v42, v27
	v_fma_f16 v12, v11, v12, -v14
	v_lshrrev_b32_e32 v14, 16, v7
	v_lshrrev_b32_e32 v27, 16, v6
	v_lshrrev_b32_e32 v29, 16, v8
	v_fmac_f16_e32 v32, v11, v31
	v_mul_f16_e32 v11, v22, v35
	v_mul_f16_e32 v30, v21, v35
	;; [unrolled: 1-line block ×8, first 2 shown]
	v_fma_f16 v24, v7, v24, -v35
	v_fmac_f16_e32 v36, v6, v18
	v_fmac_f16_e32 v37, v8, v16
	;; [unrolled: 1-line block ×3, first 2 shown]
	v_fma_f16 v6, v6, v25, -v27
	v_fma_f16 v7, v8, v26, -v29
	v_lshrrev_b32_e32 v41, 16, v19
	v_sub_f16_e32 v16, v23, v24
	v_sub_f16_e32 v17, v36, v37
	;; [unrolled: 1-line block ×4, first 2 shown]
	v_mul_f16_e32 v31, v40, v41
	v_mul_f16_e32 v8, v28, v41
	v_fma_f16 v11, v13, v21, -v11
	v_fmac_f16_e32 v30, v13, v22
	v_sub_f16_e32 v18, v16, v17
	v_add_f16_e32 v21, v14, v7
	v_fma_f16 v22, v23, 2.0, -v16
	v_fma_f16 v6, v6, 2.0, -v7
	v_fma_f16 v7, v15, 2.0, -v14
	v_fma_f16 v15, v36, 2.0, -v17
	v_fma_f16 v13, v19, v28, -v31
	v_fmac_f16_e32 v8, v19, v40
	v_mul_f16_e32 v17, v21, v38
	v_mul_f16_e32 v19, v18, v38
	v_sub_f16_e32 v6, v22, v6
	v_sub_f16_e32 v15, v7, v15
	v_fma_f16 v16, v16, 2.0, -v18
	v_fma_f16 v14, v14, 2.0, -v21
	v_fma_f16 v17, v18, v20, -v17
	v_fmac_f16_e32 v19, v21, v20
	v_mul_f16_e32 v18, v15, v32
	v_fma_f16 v7, v7, 2.0, -v15
	v_fma_f16 v21, v22, 2.0, -v6
	v_mul_f16_e32 v20, v6, v32
	v_mul_f16_e32 v22, v14, v30
	;; [unrolled: 1-line block ×3, first 2 shown]
	v_fma_f16 v18, v6, v12, -v18
	v_mul_f16_e32 v6, v7, v8
	v_mul_f16_e32 v8, v21, v8
	v_fmac_f16_e32 v20, v15, v12
	v_fma_f16 v12, v16, v11, -v22
	v_fmac_f16_e32 v23, v14, v11
	v_fma_f16 v11, v21, v13, -v6
	v_fmac_f16_e32 v8, v7, v13
	s_wait_alu 0xfffd
	v_add_co_ci_u32_e32 v5, vcc_lo, v34, v5, vcc_lo
	v_add_co_u32 v6, vcc_lo, v33, v9
	s_delay_alu instid0(VALU_DEP_3)
	v_pack_b32_f16 v8, v8, v11
	v_pack_b32_f16 v9, v23, v12
	s_wait_alu 0xfffd
	v_add_co_ci_u32_e32 v7, vcc_lo, v34, v10, vcc_lo
	v_pack_b32_f16 v10, v20, v18
	v_pack_b32_f16 v11, v19, v17
	s_clause 0x3
	global_store_b32 v[0:1], v8, off
	global_store_b32 v[2:3], v9, off
	;; [unrolled: 1-line block ×4, first 2 shown]
.LBB0_26:
	s_nop 0
	s_sendmsg sendmsg(MSG_DEALLOC_VGPRS)
	s_endpgm
	.section	.rodata,"a",@progbits
	.p2align	6, 0x0
	.amdhsa_kernel fft_rtc_back_len224_factors_8_7_4_wgs_504_tpt_56_half_ip_CI_sbcc_twdbase5_3step_dirReg
		.amdhsa_group_segment_fixed_size 0
		.amdhsa_private_segment_fixed_size 0
		.amdhsa_kernarg_size 96
		.amdhsa_user_sgpr_count 2
		.amdhsa_user_sgpr_dispatch_ptr 0
		.amdhsa_user_sgpr_queue_ptr 0
		.amdhsa_user_sgpr_kernarg_segment_ptr 1
		.amdhsa_user_sgpr_dispatch_id 0
		.amdhsa_user_sgpr_private_segment_size 0
		.amdhsa_wavefront_size32 1
		.amdhsa_uses_dynamic_stack 0
		.amdhsa_enable_private_segment 0
		.amdhsa_system_sgpr_workgroup_id_x 1
		.amdhsa_system_sgpr_workgroup_id_y 0
		.amdhsa_system_sgpr_workgroup_id_z 0
		.amdhsa_system_sgpr_workgroup_info 0
		.amdhsa_system_vgpr_workitem_id 0
		.amdhsa_next_free_vgpr 45
		.amdhsa_next_free_sgpr 49
		.amdhsa_reserve_vcc 1
		.amdhsa_float_round_mode_32 0
		.amdhsa_float_round_mode_16_64 0
		.amdhsa_float_denorm_mode_32 3
		.amdhsa_float_denorm_mode_16_64 3
		.amdhsa_fp16_overflow 0
		.amdhsa_workgroup_processor_mode 1
		.amdhsa_memory_ordered 1
		.amdhsa_forward_progress 0
		.amdhsa_round_robin_scheduling 0
		.amdhsa_exception_fp_ieee_invalid_op 0
		.amdhsa_exception_fp_denorm_src 0
		.amdhsa_exception_fp_ieee_div_zero 0
		.amdhsa_exception_fp_ieee_overflow 0
		.amdhsa_exception_fp_ieee_underflow 0
		.amdhsa_exception_fp_ieee_inexact 0
		.amdhsa_exception_int_div_zero 0
	.end_amdhsa_kernel
	.text
.Lfunc_end0:
	.size	fft_rtc_back_len224_factors_8_7_4_wgs_504_tpt_56_half_ip_CI_sbcc_twdbase5_3step_dirReg, .Lfunc_end0-fft_rtc_back_len224_factors_8_7_4_wgs_504_tpt_56_half_ip_CI_sbcc_twdbase5_3step_dirReg
                                        ; -- End function
	.section	.AMDGPU.csdata,"",@progbits
; Kernel info:
; codeLenInByte = 6000
; NumSgprs: 51
; NumVgprs: 45
; ScratchSize: 0
; MemoryBound: 0
; FloatMode: 240
; IeeeMode: 1
; LDSByteSize: 0 bytes/workgroup (compile time only)
; SGPRBlocks: 6
; VGPRBlocks: 5
; NumSGPRsForWavesPerEU: 51
; NumVGPRsForWavesPerEU: 45
; Occupancy: 16
; WaveLimiterHint : 1
; COMPUTE_PGM_RSRC2:SCRATCH_EN: 0
; COMPUTE_PGM_RSRC2:USER_SGPR: 2
; COMPUTE_PGM_RSRC2:TRAP_HANDLER: 0
; COMPUTE_PGM_RSRC2:TGID_X_EN: 1
; COMPUTE_PGM_RSRC2:TGID_Y_EN: 0
; COMPUTE_PGM_RSRC2:TGID_Z_EN: 0
; COMPUTE_PGM_RSRC2:TIDIG_COMP_CNT: 0
	.text
	.p2alignl 7, 3214868480
	.fill 96, 4, 3214868480
	.type	__hip_cuid_da7dd35d6f6460bb,@object ; @__hip_cuid_da7dd35d6f6460bb
	.section	.bss,"aw",@nobits
	.globl	__hip_cuid_da7dd35d6f6460bb
__hip_cuid_da7dd35d6f6460bb:
	.byte	0                               ; 0x0
	.size	__hip_cuid_da7dd35d6f6460bb, 1

	.ident	"AMD clang version 19.0.0git (https://github.com/RadeonOpenCompute/llvm-project roc-6.4.0 25133 c7fe45cf4b819c5991fe208aaa96edf142730f1d)"
	.section	".note.GNU-stack","",@progbits
	.addrsig
	.addrsig_sym __hip_cuid_da7dd35d6f6460bb
	.amdgpu_metadata
---
amdhsa.kernels:
  - .args:
      - .actual_access:  read_only
        .address_space:  global
        .offset:         0
        .size:           8
        .value_kind:     global_buffer
      - .address_space:  global
        .offset:         8
        .size:           8
        .value_kind:     global_buffer
      - .offset:         16
        .size:           8
        .value_kind:     by_value
      - .actual_access:  read_only
        .address_space:  global
        .offset:         24
        .size:           8
        .value_kind:     global_buffer
      - .actual_access:  read_only
        .address_space:  global
        .offset:         32
        .size:           8
        .value_kind:     global_buffer
      - .offset:         40
        .size:           8
        .value_kind:     by_value
      - .actual_access:  read_only
        .address_space:  global
        .offset:         48
        .size:           8
        .value_kind:     global_buffer
      - .actual_access:  read_only
        .address_space:  global
        .offset:         56
        .size:           8
        .value_kind:     global_buffer
      - .offset:         64
        .size:           4
        .value_kind:     by_value
      - .actual_access:  read_only
        .address_space:  global
        .offset:         72
        .size:           8
        .value_kind:     global_buffer
      - .actual_access:  read_only
        .address_space:  global
        .offset:         80
        .size:           8
        .value_kind:     global_buffer
      - .address_space:  global
        .offset:         88
        .size:           8
        .value_kind:     global_buffer
    .group_segment_fixed_size: 0
    .kernarg_segment_align: 8
    .kernarg_segment_size: 96
    .language:       OpenCL C
    .language_version:
      - 2
      - 0
    .max_flat_workgroup_size: 504
    .name:           fft_rtc_back_len224_factors_8_7_4_wgs_504_tpt_56_half_ip_CI_sbcc_twdbase5_3step_dirReg
    .private_segment_fixed_size: 0
    .sgpr_count:     51
    .sgpr_spill_count: 0
    .symbol:         fft_rtc_back_len224_factors_8_7_4_wgs_504_tpt_56_half_ip_CI_sbcc_twdbase5_3step_dirReg.kd
    .uniform_work_group_size: 1
    .uses_dynamic_stack: false
    .vgpr_count:     45
    .vgpr_spill_count: 0
    .wavefront_size: 32
    .workgroup_processor_mode: 1
amdhsa.target:   amdgcn-amd-amdhsa--gfx1201
amdhsa.version:
  - 1
  - 2
...

	.end_amdgpu_metadata
